;; amdgpu-corpus repo=ROCm/rocFFT kind=compiled arch=gfx950 opt=O3
	.text
	.amdgcn_target "amdgcn-amd-amdhsa--gfx950"
	.amdhsa_code_object_version 6
	.protected	fft_rtc_back_len640_factors_8_10_8_wgs_128_tpt_64_halfLds_sp_op_CI_CI_sbrr_dirReg ; -- Begin function fft_rtc_back_len640_factors_8_10_8_wgs_128_tpt_64_halfLds_sp_op_CI_CI_sbrr_dirReg
	.globl	fft_rtc_back_len640_factors_8_10_8_wgs_128_tpt_64_halfLds_sp_op_CI_CI_sbrr_dirReg
	.p2align	8
	.type	fft_rtc_back_len640_factors_8_10_8_wgs_128_tpt_64_halfLds_sp_op_CI_CI_sbrr_dirReg,@function
fft_rtc_back_len640_factors_8_10_8_wgs_128_tpt_64_halfLds_sp_op_CI_CI_sbrr_dirReg: ; @fft_rtc_back_len640_factors_8_10_8_wgs_128_tpt_64_halfLds_sp_op_CI_CI_sbrr_dirReg
; %bb.0:
	s_load_dwordx4 s[12:15], s[0:1], 0x18
	s_load_dwordx4 s[4:7], s[0:1], 0x0
	;; [unrolled: 1-line block ×3, first 2 shown]
	v_lshrrev_b32_e32 v1, 6, v0
	v_lshl_or_b32 v4, s2, 1, v1
	s_waitcnt lgkmcnt(0)
	s_load_dwordx2 s[18:19], s[12:13], 0x0
	s_load_dwordx2 s[16:17], s[14:15], 0x0
	v_mov_b32_e32 v2, 0
	v_cmp_lt_u64_e64 s[2:3], s[6:7], 2
	v_mov_b32_e32 v5, v2
	s_and_b64 vcc, exec, s[2:3]
	v_mov_b64_e32 v[8:9], 0
	s_cbranch_vccnz .LBB0_8
; %bb.1:
	s_load_dwordx2 s[2:3], s[0:1], 0x10
	s_add_u32 s20, s14, 8
	s_addc_u32 s21, s15, 0
	s_add_u32 s22, s12, 8
	s_addc_u32 s23, s13, 0
	s_waitcnt lgkmcnt(0)
	s_add_u32 s24, s2, 8
	v_mov_b64_e32 v[8:9], 0
	s_addc_u32 s25, s3, 0
	s_mov_b64 s[26:27], 1
	v_mov_b64_e32 v[20:21], v[8:9]
.LBB0_2:                                ; =>This Inner Loop Header: Depth=1
	s_load_dwordx2 s[28:29], s[24:25], 0x0
                                        ; implicit-def: $vgpr22_vgpr23
	s_waitcnt lgkmcnt(0)
	v_or_b32_e32 v3, s29, v5
	v_cmp_ne_u64_e32 vcc, 0, v[2:3]
	s_and_saveexec_b64 s[2:3], vcc
	s_xor_b64 s[30:31], exec, s[2:3]
	s_cbranch_execz .LBB0_4
; %bb.3:                                ;   in Loop: Header=BB0_2 Depth=1
	v_cvt_f32_u32_e32 v1, s28
	v_cvt_f32_u32_e32 v3, s29
	s_sub_u32 s2, 0, s28
	s_subb_u32 s3, 0, s29
	v_fmac_f32_e32 v1, 0x4f800000, v3
	v_rcp_f32_e32 v1, v1
	s_nop 0
	v_mul_f32_e32 v1, 0x5f7ffffc, v1
	v_mul_f32_e32 v3, 0x2f800000, v1
	v_trunc_f32_e32 v3, v3
	v_fmac_f32_e32 v1, 0xcf800000, v3
	v_cvt_u32_f32_e32 v3, v3
	v_cvt_u32_f32_e32 v1, v1
	v_mul_lo_u32 v6, s2, v3
	v_mul_hi_u32 v10, s2, v1
	v_mul_lo_u32 v7, s3, v1
	v_add_u32_e32 v10, v10, v6
	v_mul_lo_u32 v12, s2, v1
	v_add_u32_e32 v13, v10, v7
	v_mul_hi_u32 v6, v1, v12
	v_mul_hi_u32 v11, v1, v13
	v_mul_lo_u32 v10, v1, v13
	v_mov_b32_e32 v7, v2
	v_lshl_add_u64 v[6:7], v[6:7], 0, v[10:11]
	v_mul_hi_u32 v11, v3, v12
	v_mul_lo_u32 v12, v3, v12
	v_add_co_u32_e32 v6, vcc, v6, v12
	v_mul_hi_u32 v10, v3, v13
	s_nop 0
	v_addc_co_u32_e32 v6, vcc, v7, v11, vcc
	v_mov_b32_e32 v7, v2
	s_nop 0
	v_addc_co_u32_e32 v11, vcc, 0, v10, vcc
	v_mul_lo_u32 v10, v3, v13
	v_lshl_add_u64 v[6:7], v[6:7], 0, v[10:11]
	v_add_co_u32_e32 v1, vcc, v1, v6
	v_mul_lo_u32 v10, s2, v1
	s_nop 0
	v_addc_co_u32_e32 v3, vcc, v3, v7, vcc
	v_mul_lo_u32 v6, s2, v3
	v_mul_hi_u32 v7, s2, v1
	v_add_u32_e32 v6, v7, v6
	v_mul_lo_u32 v7, s3, v1
	v_add_u32_e32 v12, v6, v7
	v_mul_hi_u32 v14, v3, v10
	v_mul_lo_u32 v15, v3, v10
	v_mul_hi_u32 v7, v1, v12
	v_mul_lo_u32 v6, v1, v12
	v_mul_hi_u32 v10, v1, v10
	v_mov_b32_e32 v11, v2
	v_lshl_add_u64 v[6:7], v[10:11], 0, v[6:7]
	v_add_co_u32_e32 v6, vcc, v6, v15
	v_mul_hi_u32 v13, v3, v12
	s_nop 0
	v_addc_co_u32_e32 v6, vcc, v7, v14, vcc
	v_mul_lo_u32 v10, v3, v12
	s_nop 0
	v_addc_co_u32_e32 v11, vcc, 0, v13, vcc
	v_mov_b32_e32 v7, v2
	v_lshl_add_u64 v[6:7], v[6:7], 0, v[10:11]
	v_add_co_u32_e32 v1, vcc, v1, v6
	v_mul_hi_u32 v10, v4, v1
	s_nop 0
	v_addc_co_u32_e32 v3, vcc, v3, v7, vcc
	v_mad_u64_u32 v[6:7], s[2:3], v4, v3, 0
	v_mov_b32_e32 v11, v2
	v_lshl_add_u64 v[6:7], v[10:11], 0, v[6:7]
	v_mad_u64_u32 v[12:13], s[2:3], v5, v1, 0
	v_add_co_u32_e32 v1, vcc, v6, v12
	v_mad_u64_u32 v[10:11], s[2:3], v5, v3, 0
	s_nop 0
	v_addc_co_u32_e32 v6, vcc, v7, v13, vcc
	v_mov_b32_e32 v7, v2
	s_nop 0
	v_addc_co_u32_e32 v11, vcc, 0, v11, vcc
	v_lshl_add_u64 v[6:7], v[6:7], 0, v[10:11]
	v_mul_lo_u32 v1, s29, v6
	v_mul_lo_u32 v3, s28, v7
	v_mad_u64_u32 v[10:11], s[2:3], s28, v6, 0
	v_add3_u32 v1, v11, v3, v1
	v_sub_u32_e32 v3, v5, v1
	v_mov_b32_e32 v11, s29
	v_sub_co_u32_e32 v14, vcc, v4, v10
	v_lshl_add_u64 v[12:13], v[6:7], 0, 1
	s_nop 0
	v_subb_co_u32_e64 v3, s[2:3], v3, v11, vcc
	v_subrev_co_u32_e64 v10, s[2:3], s28, v14
	v_subb_co_u32_e32 v1, vcc, v5, v1, vcc
	s_nop 0
	v_subbrev_co_u32_e64 v3, s[2:3], 0, v3, s[2:3]
	v_cmp_le_u32_e64 s[2:3], s29, v3
	v_cmp_le_u32_e32 vcc, s29, v1
	s_nop 0
	v_cndmask_b32_e64 v11, 0, -1, s[2:3]
	v_cmp_le_u32_e64 s[2:3], s28, v10
	s_nop 1
	v_cndmask_b32_e64 v10, 0, -1, s[2:3]
	v_cmp_eq_u32_e64 s[2:3], s29, v3
	s_nop 1
	v_cndmask_b32_e64 v3, v11, v10, s[2:3]
	v_lshl_add_u64 v[10:11], v[6:7], 0, 2
	v_cmp_ne_u32_e64 s[2:3], 0, v3
	s_nop 1
	v_cndmask_b32_e64 v3, v13, v11, s[2:3]
	v_cndmask_b32_e64 v11, 0, -1, vcc
	v_cmp_le_u32_e32 vcc, s28, v14
	s_nop 1
	v_cndmask_b32_e64 v13, 0, -1, vcc
	v_cmp_eq_u32_e32 vcc, s29, v1
	s_nop 1
	v_cndmask_b32_e32 v1, v11, v13, vcc
	v_cmp_ne_u32_e32 vcc, 0, v1
	v_cndmask_b32_e64 v1, v12, v10, s[2:3]
	s_nop 0
	v_cndmask_b32_e32 v23, v7, v3, vcc
	v_cndmask_b32_e32 v22, v6, v1, vcc
.LBB0_4:                                ;   in Loop: Header=BB0_2 Depth=1
	s_andn2_saveexec_b64 s[2:3], s[30:31]
	s_cbranch_execz .LBB0_6
; %bb.5:                                ;   in Loop: Header=BB0_2 Depth=1
	v_cvt_f32_u32_e32 v1, s28
	s_sub_i32 s30, 0, s28
	v_mov_b32_e32 v23, v2
	v_rcp_iflag_f32_e32 v1, v1
	s_nop 0
	v_mul_f32_e32 v1, 0x4f7ffffe, v1
	v_cvt_u32_f32_e32 v1, v1
	v_mul_lo_u32 v3, s30, v1
	v_mul_hi_u32 v3, v1, v3
	v_add_u32_e32 v1, v1, v3
	v_mul_hi_u32 v1, v4, v1
	v_mul_lo_u32 v3, v1, s28
	v_sub_u32_e32 v3, v4, v3
	v_add_u32_e32 v6, 1, v1
	v_subrev_u32_e32 v7, s28, v3
	v_cmp_le_u32_e32 vcc, s28, v3
	s_nop 1
	v_cndmask_b32_e32 v3, v3, v7, vcc
	v_cndmask_b32_e32 v1, v1, v6, vcc
	v_add_u32_e32 v6, 1, v1
	v_cmp_le_u32_e32 vcc, s28, v3
	s_nop 1
	v_cndmask_b32_e32 v22, v1, v6, vcc
.LBB0_6:                                ;   in Loop: Header=BB0_2 Depth=1
	s_or_b64 exec, exec, s[2:3]
	v_mad_u64_u32 v[6:7], s[2:3], v22, s28, 0
	s_load_dwordx2 s[2:3], s[22:23], 0x0
	v_mul_lo_u32 v1, v23, s28
	v_mul_lo_u32 v3, v22, s29
	s_load_dwordx2 s[28:29], s[20:21], 0x0
	s_add_u32 s26, s26, 1
	v_add3_u32 v1, v7, v3, v1
	v_sub_co_u32_e32 v3, vcc, v4, v6
	s_addc_u32 s27, s27, 0
	s_nop 0
	v_subb_co_u32_e32 v1, vcc, v5, v1, vcc
	s_add_u32 s20, s20, 8
	s_waitcnt lgkmcnt(0)
	v_mul_lo_u32 v4, s2, v1
	v_mul_lo_u32 v5, s3, v3
	v_mad_u64_u32 v[8:9], s[2:3], s2, v3, v[8:9]
	s_addc_u32 s21, s21, 0
	v_add3_u32 v9, v5, v9, v4
	v_mul_lo_u32 v1, s28, v1
	v_mul_lo_u32 v4, s29, v3
	v_mad_u64_u32 v[20:21], s[2:3], s28, v3, v[20:21]
	s_add_u32 s22, s22, 8
	v_add3_u32 v21, v4, v21, v1
	s_addc_u32 s23, s23, 0
	v_mov_b64_e32 v[4:5], s[6:7]
	s_add_u32 s24, s24, 8
	v_cmp_ge_u64_e32 vcc, s[26:27], v[4:5]
	s_addc_u32 s25, s25, 0
	s_cbranch_vccnz .LBB0_9
; %bb.7:                                ;   in Loop: Header=BB0_2 Depth=1
	v_mov_b64_e32 v[4:5], v[22:23]
	s_branch .LBB0_2
.LBB0_8:
	v_mov_b64_e32 v[20:21], v[8:9]
	v_mov_b64_e32 v[22:23], v[4:5]
.LBB0_9:
	s_load_dwordx2 s[0:1], s[0:1], 0x28
	s_lshl_b64 s[20:21], s[6:7], 3
	s_add_u32 s6, s14, s20
	s_addc_u32 s7, s15, s21
	v_and_b32_e32 v60, 63, v0
	s_waitcnt lgkmcnt(0)
	v_cmp_gt_u64_e32 vcc, s[0:1], v[22:23]
	v_cmp_le_u64_e64 s[0:1], s[0:1], v[22:23]
                                        ; implicit-def: $sgpr14
                                        ; implicit-def: $vgpr61
	s_and_saveexec_b64 s[2:3], s[0:1]
	s_xor_b64 s[0:1], exec, s[2:3]
; %bb.10:
	v_and_b32_e32 v60, 63, v0
	v_or_b32_e32 v61, 64, v60
	s_mov_b32 s14, 0
                                        ; implicit-def: $vgpr8_vgpr9
; %bb.11:
	s_or_saveexec_b64 s[2:3], s[0:1]
	s_load_dwordx2 s[6:7], s[6:7], 0x0
	v_mov_b32_e32 v2, s14
	v_mov_b32_e32 v3, s14
	;; [unrolled: 1-line block ×8, first 2 shown]
                                        ; implicit-def: $vgpr49
                                        ; implicit-def: $vgpr19
                                        ; implicit-def: $vgpr6
                                        ; implicit-def: $vgpr40
                                        ; implicit-def: $vgpr37
                                        ; implicit-def: $vgpr27
                                        ; implicit-def: $vgpr34
                                        ; implicit-def: $vgpr4
                                        ; implicit-def: $vgpr30
                                        ; implicit-def: $vgpr12
                                        ; implicit-def: $vgpr50
                                        ; implicit-def: $vgpr47
                                        ; implicit-def: $vgpr32
                                        ; implicit-def: $vgpr10
                                        ; implicit-def: $vgpr42
	s_xor_b64 exec, exec, s[2:3]
	s_cbranch_execz .LBB0_15
; %bb.12:
	s_add_u32 s0, s12, s20
	s_addc_u32 s1, s13, s21
	s_load_dwordx2 s[0:1], s[0:1], 0x0
	v_or_b32_e32 v61, 64, v60
	v_mov_b32_e32 v38, 0
	v_mov_b32_e32 v29, 0
	;; [unrolled: 1-line block ×3, first 2 shown]
	s_waitcnt lgkmcnt(0)
	v_mul_lo_u32 v1, s1, v22
	v_mul_lo_u32 v4, s0, v23
	v_mad_u64_u32 v[2:3], s[0:1], s0, v22, 0
	v_add3_u32 v3, v3, v4, v1
	v_mad_u64_u32 v[4:5], s[0:1], s18, v60, 0
	v_mov_b32_e32 v6, v5
	v_mad_u64_u32 v[6:7], s[0:1], s19, v60, v[6:7]
	v_lshl_add_u64 v[2:3], v[2:3], 3, s[8:9]
	v_mov_b32_e32 v5, v6
	v_lshl_add_u64 v[30:31], v[8:9], 3, v[2:3]
	v_add_u32_e32 v1, 0x50, v60
	v_lshl_add_u64 v[2:3], v[4:5], 3, v[30:31]
	v_mad_u64_u32 v[4:5], s[0:1], s18, v1, 0
	v_mov_b32_e32 v6, v5
	v_mad_u64_u32 v[6:7], s[0:1], s19, v1, v[6:7]
	v_mov_b32_e32 v5, v6
	v_add_u32_e32 v1, 0xa0, v60
	v_lshl_add_u64 v[6:7], v[4:5], 3, v[30:31]
	v_mad_u64_u32 v[4:5], s[0:1], s18, v1, 0
	v_mov_b32_e32 v8, v5
	v_mad_u64_u32 v[8:9], s[0:1], s19, v1, v[8:9]
	v_mov_b32_e32 v5, v8
	;; [unrolled: 6-line block ×3, first 2 shown]
	v_or_b32_e32 v1, 0x140, v60
	v_lshl_add_u64 v[14:15], v[4:5], 3, v[30:31]
	global_load_dwordx2 v[4:5], v[2:3], off
	global_load_dwordx2 v[12:13], v[6:7], off
	;; [unrolled: 1-line block ×4, first 2 shown]
	v_mad_u64_u32 v[2:3], s[0:1], s18, v1, 0
	v_mov_b32_e32 v6, v3
	v_mad_u64_u32 v[6:7], s[0:1], s19, v1, v[6:7]
	v_add_u32_e32 v1, 0x190, v60
	v_mov_b32_e32 v3, v6
	v_mad_u64_u32 v[6:7], s[0:1], s18, v1, 0
	v_mov_b32_e32 v10, v7
	v_mad_u64_u32 v[10:11], s[0:1], s19, v1, v[10:11]
	v_add_u32_e32 v1, 0x1e0, v60
	v_mov_b32_e32 v7, v10
	v_mad_u64_u32 v[10:11], s[0:1], s18, v1, 0
	v_mov_b32_e32 v14, v11
	v_mad_u64_u32 v[14:15], s[0:1], s19, v1, v[14:15]
	v_mov_b32_e32 v11, v14
	v_add_u32_e32 v1, 0x230, v60
	v_lshl_add_u64 v[14:15], v[10:11], 3, v[30:31]
	v_mad_u64_u32 v[10:11], s[0:1], s18, v1, 0
	v_mov_b32_e32 v16, v11
	v_mad_u64_u32 v[16:17], s[0:1], s19, v1, v[16:17]
	v_lshl_add_u64 v[2:3], v[2:3], 3, v[30:31]
	v_mov_b32_e32 v11, v16
	v_lshl_add_u64 v[6:7], v[6:7], 3, v[30:31]
	v_lshl_add_u64 v[16:17], v[10:11], 3, v[30:31]
	global_load_dwordx2 v[44:45], v[2:3], off
	global_load_dwordx2 v[42:43], v[6:7], off
	;; [unrolled: 1-line block ×4, first 2 shown]
	s_movk_i32 s0, 0x50
	v_cmp_gt_u32_e64 s[0:1], s0, v61
	v_mov_b32_e32 v17, 0
	v_mov_b32_e32 v15, 0
	;; [unrolled: 1-line block ×5, first 2 shown]
                                        ; implicit-def: $vgpr35
                                        ; implicit-def: $vgpr27
                                        ; implicit-def: $vgpr37
                                        ; implicit-def: $vgpr41
                                        ; implicit-def: $vgpr7
	s_and_saveexec_b64 s[8:9], s[0:1]
	s_cbranch_execz .LBB0_14
; %bb.13:
	v_mad_u64_u32 v[2:3], s[0:1], s18, v61, 0
	v_mov_b32_e32 v6, v3
	v_mad_u64_u32 v[6:7], s[0:1], s19, v61, v[6:7]
	v_mov_b32_e32 v3, v6
	v_add_u32_e32 v1, 0x90, v60
	v_lshl_add_u64 v[6:7], v[2:3], 3, v[30:31]
	v_mad_u64_u32 v[2:3], s[0:1], s18, v1, 0
	v_mov_b32_e32 v14, v3
	v_mad_u64_u32 v[14:15], s[0:1], s19, v1, v[14:15]
	v_mov_b32_e32 v3, v14
	v_add_u32_e32 v1, 0xe0, v60
	v_lshl_add_u64 v[26:27], v[2:3], 3, v[30:31]
	;; [unrolled: 6-line block ×3, first 2 shown]
	v_mad_u64_u32 v[2:3], s[0:1], s18, v1, 0
	v_mov_b32_e32 v14, v3
	v_mad_u64_u32 v[14:15], s[0:1], s19, v1, v[14:15]
	v_mov_b32_e32 v3, v14
	v_or_b32_e32 v1, 0x180, v60
	v_lshl_add_u64 v[34:35], v[2:3], 3, v[30:31]
	global_load_dwordx2 v[2:3], v[6:7], off
	global_load_dwordx2 v[24:25], v[26:27], off
	;; [unrolled: 1-line block ×4, first 2 shown]
	v_mad_u64_u32 v[6:7], s[0:1], s18, v1, 0
	v_mov_b32_e32 v26, v7
	v_mad_u64_u32 v[26:27], s[0:1], s19, v1, v[26:27]
	v_mov_b32_e32 v7, v26
	v_add_u32_e32 v1, 0x1d0, v60
	v_lshl_add_u64 v[28:29], v[6:7], 3, v[30:31]
	v_mad_u64_u32 v[6:7], s[0:1], s18, v1, 0
	v_mov_b32_e32 v26, v7
	v_mad_u64_u32 v[26:27], s[0:1], s19, v1, v[26:27]
	v_mov_b32_e32 v7, v26
	v_add_u32_e32 v1, 0x220, v60
	v_lshl_add_u64 v[34:35], v[6:7], 3, v[30:31]
	v_mad_u64_u32 v[6:7], s[0:1], s18, v1, 0
	v_mov_b32_e32 v26, v7
	v_mad_u64_u32 v[26:27], s[0:1], s19, v1, v[26:27]
	v_add_u32_e32 v1, 0x270, v60
	v_mad_u64_u32 v[38:39], s[0:1], s18, v1, 0
	v_mov_b32_e32 v7, v26
	v_mov_b32_e32 v46, v39
	v_lshl_add_u64 v[36:37], v[6:7], 3, v[30:31]
	global_load_dwordx2 v[6:7], v[28:29], off
	global_load_dwordx2 v[40:41], v[34:35], off
	;; [unrolled: 1-line block ×3, first 2 shown]
	v_mad_u64_u32 v[28:29], s[0:1], s19, v1, v[46:47]
	v_mov_b32_e32 v39, v28
	v_lshl_add_u64 v[28:29], v[38:39], 3, v[30:31]
	global_load_dwordx2 v[34:35], v[28:29], off
	s_waitcnt vmcnt(5)
	v_mov_b32_e32 v29, v14
	s_waitcnt vmcnt(4)
	v_mov_b32_e32 v38, v16
	v_mov_b32_e32 v16, v24
	s_waitcnt vmcnt(1)
	v_mov_b32_e32 v37, v26
.LBB0_14:
	s_or_b64 exec, exec, s[8:9]
	s_waitcnt vmcnt(0)
	v_mov_b32_e32 v49, v18
	v_mov_b32_e32 v30, v5
	;; [unrolled: 1-line block ×12, first 2 shown]
.LBB0_15:
	s_or_b64 exec, exec, s[2:3]
	v_and_b32_e32 v1, 64, v0
	v_mov_b32_e32 v8, 0x280
	v_cmp_ne_u32_e64 s[0:1], 0, v1
	v_pk_add_f32 v[44:45], v[50:51], v[48:49] neg_lo:[0,1] neg_hi:[0,1]
	v_pk_add_f32 v[48:49], v[12:13], v[18:19] neg_lo:[0,1] neg_hi:[0,1]
	v_cndmask_b32_e64 v54, 0, v8, s[0:1]
	v_fma_f32 v9, v12, 2.0, -v48
	v_fma_f32 v8, v51, 2.0, -v45
	;; [unrolled: 1-line block ×3, first 2 shown]
	v_sub_f32_e32 v8, v9, v8
	v_sub_f32_e32 v13, v44, v45
	v_fma_f32 v1, v50, 2.0, -v44
	v_fma_f32 v18, v9, 2.0, -v8
	;; [unrolled: 1-line block ×3, first 2 shown]
	v_pk_add_f32 v[44:45], v[24:25], v[40:41] neg_lo:[0,1] neg_hi:[0,1]
	v_mov_b32_e32 v41, v35
	v_pk_add_f32 v[40:41], v[16:17], v[40:41] neg_lo:[0,1] neg_hi:[0,1]
	v_add_f32_e32 v39, v17, v17
	v_mov_b32_e32 v14, v41
	v_mov_b32_e32 v35, v41
	v_pk_add_f32 v[50:51], v[40:41], v[14:15]
	v_pk_add_f32 v[34:35], v[38:39], v[34:35] neg_lo:[0,1] neg_hi:[0,1]
	v_mov_b32_e32 v14, v45
	v_fma_f32 v16, v16, 2.0, -v40
	v_fma_f32 v51, v40, 2.0, -v50
	v_pk_add_f32 v[40:41], v[14:15], v[34:35] neg_lo:[0,1] neg_hi:[0,1]
	v_mov_b32_e32 v14, v2
	v_mov_b32_e32 v26, v6
	v_fma_f32 v25, v25, 2.0, -v45
	v_add_f32_e32 v24, v38, v38
	v_pk_add_f32 v[26:27], v[14:15], v[26:27] neg_lo:[0,1] neg_hi:[0,1]
	v_add_f32_e32 v28, v15, v15
	v_add_f32_e32 v17, v25, v25
	v_pk_add_f32 v[24:25], v[24:25], v[34:35] neg_lo:[0,1] neg_hi:[0,1]
	v_mov_b32_e32 v36, v27
	v_add_f32_e32 v55, v48, v49
	v_add_f32_e32 v49, v16, v16
	v_pk_add_f32 v[16:17], v[16:17], v[24:25] neg_lo:[0,1] neg_hi:[0,1]
	v_pk_add_f32 v[14:15], v[28:29], v[36:37] neg_lo:[0,1] neg_hi:[0,1]
	v_fma_f32 v34, v2, 2.0, -v26
	v_fma_f32 v52, v48, 2.0, -v55
	v_mov_b32_e32 v24, v27
	v_fma_f32 v28, v29, 2.0, -v15
	v_mov_b32_e32 v29, v16
	v_mov_b32_e32 v48, v34
	v_fma_f32 v41, v45, 2.0, -v40
	v_pk_add_f32 v[44:45], v[26:27], v[24:25]
	v_mov_b32_e32 v35, v26
	v_pk_add_f32 v[26:27], v[48:49], v[28:29] neg_lo:[0,1] neg_hi:[0,1]
	v_mov_b32_e32 v29, v44
	v_mov_b32_e32 v28, v26
	v_pk_fma_f32 v[38:39], v[34:35], 2.0, v[28:29] op_sel_hi:[1,0,1] neg_lo:[0,0,1] neg_hi:[0,0,1]
	v_mov_b32_e32 v24, v25
	v_mov_b32_e32 v33, v38
	s_mov_b32 s0, 0x3f3504f3
	v_pk_add_f32 v[24:25], v[24:25], v[26:27]
	v_pk_add_f32 v[26:27], v[32:33], v[26:27] neg_lo:[0,1] neg_hi:[0,1]
	v_lshl_add_u32 v43, v60, 5, 0
	v_mov_b32_e32 v25, v27
	v_pk_fma_f32 v[26:27], v[50:51], s[0:1], v[44:45] op_sel_hi:[1,0,1]
	v_pk_fma_f32 v[44:45], v[50:51], s[0:1], v[38:39] op_sel_hi:[1,0,1] neg_lo:[1,0,0] neg_hi:[1,0,0]
	v_add_f32_e32 v46, v32, v32
	v_mov_b32_e32 v44, v5
	v_pk_add_f32 v[32:33], v[32:33], v[42:43] op_sel_hi:[1,0] neg_lo:[0,1] neg_hi:[0,1]
	v_mov_b32_e32 v27, v45
	v_pk_add_f32 v[44:45], v[4:5], v[44:45] neg_lo:[0,1] neg_hi:[0,1]
	v_mov_b32_e32 v33, v10
	v_pk_mul_f32 v[34:35], v[50:51], s[0:1] op_sel_hi:[1,0]
	v_fma_f32 v50, v4, 2.0, -v44
	v_pk_add_f32 v[4:5], v[46:47], v[32:33] neg_lo:[0,1] neg_hi:[0,1]
	v_sub_f32_e32 v12, v1, v11
	v_mul_f32_e32 v11, 0x3f3504f3, v52
	v_mov_b32_e32 v51, v44
	v_fma_f32 v10, v47, 2.0, -v5
	v_mov_b32_e32 v33, v32
	v_pk_add_f32 v[44:45], v[50:51], v[10:11] neg_lo:[0,1] neg_hi:[0,1]
	v_pk_add_f32 v[32:33], v[50:51], v[32:33]
	v_mul_f32_e32 v19, 0x3f3504f3, v9
	v_mov_b32_e32 v45, v33
	v_pk_fma_f32 v[46:47], v[50:51], 2.0, v[44:45] op_sel_hi:[1,0,1] neg_lo:[0,0,1] neg_hi:[0,0,1]
	v_mul_f32_e32 v13, 0x3f3504f3, v13
	v_fmamk_f32 v51, v52, 0xbf3504f3, v47
	v_mov_b32_e32 v50, v46
	v_pk_fma_f32 v[26:27], v[40:41], s[0:1], v[26:27] op_sel_hi:[1,0,1]
	v_pk_add_f32 v[52:53], v[46:47], v[18:19] neg_lo:[0,1] neg_hi:[0,1]
	v_pk_add_f32 v[50:51], v[50:51], v[18:19]
	v_fmac_f32_e32 v33, 0x3f3504f3, v55
	v_mov_b32_e32 v32, v44
	v_pk_mul_f32 v[36:37], v[40:41], s[0:1] op_sel_hi:[1,0]
	v_mov_b32_e32 v40, v24
	v_mov_b32_e32 v41, v26
	;; [unrolled: 1-line block ×3, first 2 shown]
	v_pk_add_f32 v[32:33], v[32:33], v[12:13]
	v_mul_f32_e32 v9, 0x3f3504f3, v55
	v_pk_fma_f32 v[28:29], v[28:29], 2.0, v[40:41] op_sel_hi:[1,0,1] neg_lo:[0,0,1] neg_hi:[0,0,1]
	v_lshl_add_u32 v48, v54, 2, v43
	v_pk_fma_f32 v[46:47], v[46:47], 2.0, v[52:53] op_sel_hi:[1,0,1] neg_lo:[0,0,1] neg_hi:[0,0,1]
	v_pk_fma_f32 v[44:45], v[44:45], 2.0, v[32:33] op_sel_hi:[1,0,1] neg_lo:[0,0,1] neg_hi:[0,0,1]
	v_cmp_lt_u32_e64 s[0:1], 15, v60
	v_cmp_gt_u32_e64 s[2:3], 16, v60
	v_lshlrev_b32_e32 v65, 2, v54
	ds_write2_b64 v48, v[46:47], v[44:45] offset1:1
	ds_write2_b64 v48, v[52:53], v[32:33] offset0:2 offset1:3
	s_and_saveexec_b64 s[8:9], s[2:3]
	s_cbranch_execz .LBB0_17
; %bb.16:
	v_lshlrev_b32_e32 v10, 5, v61
	v_mov_b32_e32 v32, v25
	v_mov_b32_e32 v33, v27
	v_add3_u32 v10, 0, v10, v65
	v_pk_fma_f32 v[32:33], v[38:39], 2.0, v[32:33] op_sel_hi:[1,0,1] neg_lo:[0,0,1] neg_hi:[0,0,1]
	ds_write2_b64 v10, v[32:33], v[28:29] offset1:1
	v_mov_b32_e32 v32, v25
	v_mov_b32_e32 v33, v27
	ds_write2_b64 v10, v[32:33], v[40:41] offset0:2 offset1:3
.LBB0_17:
	s_or_b64 exec, exec, s[8:9]
	v_pk_add_f32 v[6:7], v[2:3], v[6:7] neg_lo:[0,1] neg_hi:[0,1]
	v_fma_f32 v10, v1, 2.0, -v12
	v_fma_f32 v6, v3, 2.0, -v7
	v_pk_add_f32 v[14:15], v[6:7], v[14:15] neg_lo:[0,1] neg_hi:[0,1]
	v_mov_b32_e32 v12, v31
	v_pk_fma_f32 v[6:7], v[6:7], 2.0, v[14:15] op_sel_hi:[1,0,1] neg_lo:[0,0,1] neg_hi:[0,0,1]
	v_pk_add_f32 v[32:33], v[30:31], v[12:13] neg_lo:[0,1] neg_hi:[0,1]
	v_mov_b32_e32 v2, v14
	v_mov_b32_e32 v3, v6
	v_fma_f32 v38, v30, 2.0, -v32
	v_pk_add_f32 v[30:31], v[2:3], v[16:17] neg_lo:[0,1] neg_hi:[0,1]
	v_mov_b32_e32 v2, v15
	v_mov_b32_e32 v39, v32
	v_pk_add_f32 v[2:3], v[2:3], v[36:37]
	v_pk_add_f32 v[16:17], v[6:7], v[36:37] neg_lo:[0,1] neg_hi:[0,1]
	v_pk_add_f32 v[4:5], v[38:39], v[4:5] neg_lo:[0,1] neg_hi:[0,1]
	v_mov_b32_e32 v3, v17
	v_pk_add_f32 v[32:33], v[2:3], v[34:35] neg_lo:[0,1] neg_hi:[0,1]
	v_add_f32_e32 v13, v5, v13
	v_mov_b32_e32 v12, v4
	v_mov_b32_e32 v2, v30
	;; [unrolled: 1-line block ×3, first 2 shown]
	v_pk_add_f32 v[8:9], v[12:13], v[8:9] neg_lo:[0,1] neg_hi:[0,1]
	v_lshlrev_b32_e32 v1, 2, v60
	v_mul_i32_i24_e32 v12, 0xffffffe4, v60
	v_pk_fma_f32 v[34:35], v[14:15], 2.0, v[2:3] op_sel_hi:[1,0,1] neg_lo:[0,0,1] neg_hi:[0,0,1]
	v_pk_fma_f32 v[14:15], v[38:39], 2.0, v[4:5] op_sel_hi:[1,0,1] neg_lo:[0,0,1] neg_hi:[0,0,1]
	v_add3_u32 v64, 0, v65, v1
	v_lshl_add_u32 v1, v61, 2, 0
	v_add3_u32 v63, v43, v12, v65
	v_sub_f32_e32 v17, v15, v19
	s_waitcnt lgkmcnt(0)
	s_barrier
	v_add_u32_e32 v62, v1, v65
	ds_read_b32 v36, v64
	ds_read_b32 v19, v62
	ds_read2st64_b32 v[42:43], v63 offset0:2 offset1:3
	ds_read2st64_b32 v[46:47], v63 offset0:4 offset1:5
	;; [unrolled: 1-line block ×4, first 2 shown]
	v_mov_b32_e32 v16, v14
	v_pk_add_f32 v[10:11], v[16:17], v[10:11] neg_lo:[0,1] neg_hi:[0,1]
	v_pk_fma_f32 v[4:5], v[4:5], 2.0, v[8:9] op_sel_hi:[1,0,1] neg_lo:[0,0,1] neg_hi:[0,0,1]
	v_pk_fma_f32 v[14:15], v[14:15], 2.0, v[10:11] op_sel_hi:[1,0,1] neg_lo:[0,0,1] neg_hi:[0,0,1]
	s_waitcnt lgkmcnt(0)
	s_barrier
	ds_write2_b64 v48, v[14:15], v[4:5] offset1:1
	ds_write2_b64 v48, v[10:11], v[8:9] offset0:2 offset1:3
	s_and_saveexec_b64 s[8:9], s[2:3]
	s_cbranch_execz .LBB0_19
; %bb.18:
	v_mov_b32_e32 v4, v31
	v_mov_b32_e32 v5, v33
	v_pk_fma_f32 v[4:5], v[6:7], 2.0, v[4:5] op_sel_hi:[1,0,1] neg_lo:[0,0,1] neg_hi:[0,0,1]
	v_mul_i32_i24_e32 v6, 28, v61
	v_add3_u32 v1, v1, v6, v65
	ds_write2_b64 v1, v[4:5], v[34:35] offset1:1
	v_mov_b32_e32 v4, v31
	v_mov_b32_e32 v5, v33
	ds_write2_b64 v1, v[4:5], v[2:3] offset0:2 offset1:3
.LBB0_19:
	s_or_b64 exec, exec, s[8:9]
	v_and_b32_e32 v15, 7, v0
	v_mul_u32_u24_e32 v0, 9, v15
	v_lshlrev_b32_e32 v37, 3, v0
	s_waitcnt lgkmcnt(0)
	s_barrier
	global_load_dwordx4 v[0:3], v37, s[4:5]
	global_load_dwordx4 v[8:11], v37, s[4:5] offset:16
	global_load_dwordx4 v[4:7], v37, s[4:5] offset:32
	global_load_dwordx3 v[12:14], v37, s[4:5] offset:48
	global_load_dwordx3 v[16:18], v37, s[4:5] offset:60
	ds_read_b32 v37, v62
	ds_read2st64_b32 v[52:53], v63 offset0:2 offset1:3
	ds_read2st64_b32 v[54:55], v63 offset0:4 offset1:5
	;; [unrolled: 1-line block ×4, first 2 shown]
	v_mov_b32_e32 v51, v43
	v_mov_b32_e32 v69, v41
	s_waitcnt lgkmcnt(3)
	v_mov_b32_e32 v50, v52
	s_mov_b32 s3, 0x3f737871
	s_waitcnt lgkmcnt(0)
	v_mov_b32_e32 v68, v58
	v_mov_b32_e32 v49, 0x3f737871
	;; [unrolled: 1-line block ×3, first 2 shown]
	s_mov_b32 s8, 0.5
	s_mov_b32 s9, 0x3f167918
	s_mov_b32 s13, 0x3e9e377a
	s_mov_b32 s12, s3
	s_mov_b32 s15, 0xbe9e377a
	s_mov_b32 s14, s13
	s_waitcnt vmcnt(4)
	v_mul_f32_e32 v80, v37, v1
	v_mul_f32_e32 v1, v19, v1
	s_waitcnt vmcnt(2)
	v_mul_f32_e32 v81, v55, v5
	v_mul_f32_e32 v5, v47, v5
	v_mov_b32_e32 v72, v3
	v_mul_f32_e32 v39, v43, v9
	v_mul_f32_e32 v74, v46, v10
	;; [unrolled: 1-line block ×4, first 2 shown]
	v_mov_b32_e32 v3, v9
	v_mov_b32_e32 v48, v11
	;; [unrolled: 1-line block ×3, first 2 shown]
	v_fma_f32 v11, v55, v4, -v5
	s_waitcnt vmcnt(0)
	v_mul_f32_e32 v5, v41, v18
	v_mov_b32_e32 v41, v59
	v_fmac_f32_e32 v80, v19, v0
	v_fma_f32 v66, v37, v0, -v1
	v_mov_b32_e32 v0, v14
	v_mov_b32_e32 v1, v18
	;; [unrolled: 1-line block ×3, first 2 shown]
	v_mul_f32_e32 v52, v52, v2
	v_fmac_f32_e32 v81, v47, v4
	v_mul_f32_e32 v4, v45, v13
	v_mul_f32_e32 v82, v57, v13
	v_pk_mul_f32 v[2:3], v[42:43], v[2:3]
	v_pk_mul_f32 v[0:1], v[40:41], v[0:1]
	v_fma_f32 v39, v53, v8, -v39
	v_mul_f32_e32 v78, v56, v7
	v_mul_f32_e32 v8, v44, v7
	v_fma_f32 v7, v57, v12, -v4
	v_fmac_f32_e32 v82, v45, v12
	v_pk_fma_f32 v[2:3], v[50:51], v[72:73], v[2:3]
	v_pk_fma_f32 v[12:13], v[68:69], v[16:17], v[0:1]
	v_mul_f32_e32 v76, v44, v6
	v_mul_f32_e32 v6, v56, v6
	;; [unrolled: 1-line block ×4, first 2 shown]
	v_fma_f32 v9, v59, v17, -v5
	v_sub_f32_e32 v55, v11, v7
	v_pk_add_f32 v[16:17], v[2:3], v[12:13]
	v_mul_f32_e32 v10, v54, v10
	v_add_f32_e32 v14, v81, v82
	v_sub_f32_e32 v37, v39, v9
	v_pk_mul_f32 v[0:1], v[54:55], s[2:3]
	v_sub_f32_e32 v77, v81, v3
	v_sub_f32_e32 v79, v82, v13
	v_fma_f32 v75, -0.5, v17, v80
	v_pk_add_f32 v[4:5], v[10:11], v[38:39] neg_lo:[0,1] neg_hi:[0,1]
	v_mul_f32_e32 v19, 0x3f167918, v37
	v_mov_b32_e32 v70, v12
	v_mov_b32_e32 v18, v2
	v_fma_f32 v10, -0.5, v14, v80
	v_pk_add_f32 v[40:41], v[76:77], v[78:79]
	v_pk_fma_f32 v[44:45], v[54:55], v[48:49], v[74:75]
	v_add_f32_e32 v14, v1, v75
	v_pk_fma_f32 v[0:1], v[54:55], v[48:49], v[74:75] neg_lo:[1,0,0] neg_hi:[1,0,0]
	v_pk_add_f32 v[42:43], v[40:41], v[12:13] neg_lo:[0,1] neg_hi:[0,1]
	v_pk_mul_f32 v[50:51], v[40:41], v[70:71]
	v_pk_add_f32 v[0:1], v[0:1], v[18:19]
	v_pk_add_f32 v[18:19], v[44:45], v[2:3] neg_lo:[0,1] neg_hi:[0,1]
	v_mov_b32_e32 v43, v51
	v_mov_b32_e32 v19, v1
	v_add_f32_e32 v17, v39, v9
	v_sub_f32_e32 v72, v81, v82
	v_pk_add_f32 v[0:1], v[18:19], v[42:43]
	v_pk_add_f32 v[18:19], v[2:3], v[12:13] neg_lo:[0,1] neg_hi:[0,1]
	v_fma_f32 v17, -0.5, v17, v66
	v_fmamk_f32 v38, v37, 0xbf737871, v10
	v_fmac_f32_e32 v10, 0x3f737871, v37
	v_fmac_f32_e32 v14, 0xbf167918, v37
	v_pk_mul_f32 v[42:43], v[18:19], s[8:9]
	v_fmamk_f32 v37, v72, 0x3f737871, v17
	v_fmac_f32_e32 v17, 0xbf737871, v72
	v_add_f32_e32 v67, v51, v14
	v_add_f32_e32 v14, v43, v17
	v_pk_add_f32 v[42:43], v[6:7], v[8:9] neg_lo:[0,1] neg_hi:[0,1]
	v_fmac_f32_e32 v38, 0xbf167918, v55
	v_pk_add_f32 v[50:51], v[4:5], v[42:43]
	v_fmac_f32_e32 v10, 0x3f167918, v55
	v_pk_mul_f32 v[54:55], v[50:51], s[12:13]
	v_add_f32_e32 v17, v80, v3
	v_add_f32_e32 v6, v55, v14
	;; [unrolled: 1-line block ×5, first 2 shown]
	v_sub_f32_e32 v48, v3, v81
	v_pk_add_f32 v[2:3], v[2:3], v[44:45] neg_lo:[0,1] neg_hi:[0,1]
	v_add_f32_e32 v14, v14, v40
	v_add_f32_e32 v17, v17, v82
	v_sub_f32_e32 v3, v13, v82
	v_add_f32_e32 v8, v11, v7
	v_add_f32_e32 v14, v14, v12
	v_add_f32_e32 v70, v48, v3
	v_mov_b32_e32 v3, v10
	v_add_f32_e32 v10, v17, v13
	v_pk_add_f32 v[12:13], v[12:13], v[40:41] neg_lo:[0,1] neg_hi:[0,1]
	v_mov_b32_e32 v53, v39
	v_mov_b32_e32 v47, v11
	;; [unrolled: 1-line block ×4, first 2 shown]
	v_fma_f32 v8, -0.5, v8, v66
	v_mul_f32_e32 v13, 0x3e9e377a, v70
	v_pk_add_f32 v[46:47], v[52:53], v[46:47] neg_lo:[0,1] neg_hi:[0,1]
	v_pk_add_f32 v[52:53], v[56:57], v[58:59] neg_lo:[0,1] neg_hi:[0,1]
	v_pk_add_f32 v[56:57], v[44:45], v[40:41]
	v_pk_add_f32 v[54:55], v[2:3], v[12:13]
	v_pk_add_f32 v[2:3], v[4:5], v[42:43] neg_lo:[0,1] neg_hi:[0,1]
	v_mov_b32_e32 v17, v19
	v_fmamk_f32 v5, v19, 0x3f737871, v8
	v_fmac_f32_e32 v8, 0xbf737871, v19
	v_pk_fma_f32 v[12:13], v[16:17], s[8:9], v[36:37] neg_lo:[1,0,0] neg_hi:[1,0,0]
	v_mov_b32_e32 v57, v72
	v_mov_b32_e32 v37, v8
	;; [unrolled: 1-line block ×3, first 2 shown]
	v_pk_fma_f32 v[16:17], v[56:57], s[8:9], v[36:37] neg_lo:[1,0,0] neg_hi:[1,0,0]
	v_pk_mul_f32 v[36:37], v[56:57], s[8:9]
	v_pk_add_f32 v[58:59], v[46:47], v[52:53] neg_lo:[0,1] neg_hi:[0,1]
	v_pk_add_f32 v[56:57], v[46:47], v[52:53]
	v_add_f32_e32 v5, v37, v5
	v_mul_f32_e32 v48, 0x3f167918, v58
	v_pk_fma_f32 v[36:37], v[2:3], s[12:13], v[12:13] neg_lo:[1,0,0] neg_hi:[1,0,0]
	v_mov_b32_e32 v59, v57
	v_pk_add_f32 v[68:69], v[36:37], v[48:49]
	v_pk_mul_f32 v[36:37], v[58:59], s[12:13]
	v_pk_fma_f32 v[48:49], v[2:3], s[12:13], v[12:13]
	v_sub_f32_e32 v41, v16, v36
	v_fmamk_f32 v3, v58, 0xbf167918, v48
	v_pk_mul_f32 v[12:13], v[0:1], s[14:15]
	v_add_f32_e32 v5, v37, v5
	v_pk_fma_f32 v[36:37], v[58:59], s[12:13], v[16:17]
	v_add_f32_e32 v43, v12, v3
	v_pk_fma_f32 v[16:17], v[0:1], s[14:15], v[68:69]
	v_pk_fma_f32 v[12:13], v[48:49], s[2:3], v[12:13] neg_lo:[1,0,0] neg_hi:[1,0,0]
	v_fmac_f32_e32 v41, 0xbf167918, v2
	v_mul_f32_e32 v2, 0x3f167918, v2
	v_mov_b32_e32 v3, 0x3f167918
	v_add_f32_e32 v17, v16, v13
	v_sub_f32_e32 v0, v16, v13
	v_pk_add_f32 v[2:3], v[36:37], v[2:3]
	v_pk_mul_f32 v[12:13], v[36:37], s[8:9]
	s_mov_b32 s3, 0xbf4f1bbd
	s_mov_b32 s2, s13
	v_mov_b32_e32 v12, v2
	v_pk_fma_f32 v[2:3], v[54:55], s[2:3], v[2:3]
	v_pk_fma_f32 v[12:13], v[54:55], s[2:3], v[12:13] neg_lo:[0,0,1] neg_hi:[0,0,1]
	v_fmac_f32_e32 v38, 0x3e9e377a, v70
	v_mov_b32_e32 v3, v13
	v_mov_b32_e32 v8, v13
	v_add_f32_e32 v12, v2, v13
	v_pk_add_f32 v[58:59], v[2:3], v[8:9] neg_lo:[0,1] neg_hi:[0,1]
	v_lshrrev_b32_e32 v2, 3, v60
	v_mul_u32_u24_e32 v2, 0x50, v2
	v_or_b32_e32 v2, v2, v15
	v_lshlrev_b32_e32 v2, 2, v2
	v_add3_u32 v19, 0, v2, v65
	v_mul_f32_e32 v2, 0xbf167918, v5
	v_fmac_f32_e32 v41, 0x3e9e377a, v54
	v_fmamk_f32 v2, v38, 0x3f4f1bbd, v2
	v_add_f32_e32 v3, v14, v10
	v_add_f32_e32 v8, v41, v2
	ds_read_b32 v36, v64
	s_waitcnt lgkmcnt(0)
	s_barrier
	ds_write2_b32 v19, v3, v8 offset1:8
	v_mul_f32_e32 v3, 0xbf737871, v6
	v_fmac_f32_e32 v3, 0x3e9e377a, v67
	v_add_f32_e32 v8, v43, v3
	ds_write2_b32 v19, v8, v17 offset0:16 offset1:24
	v_sub_f32_e32 v8, v14, v10
	v_sub_f32_e32 v2, v41, v2
	;; [unrolled: 1-line block ×3, first 2 shown]
	ds_write2_b32 v19, v12, v8 offset0:32 offset1:40
	ds_write2_b32 v19, v2, v3 offset0:48 offset1:56
	ds_write2_b32 v19, v0, v58 offset0:64 offset1:72
	v_add_u32_e32 v2, 0x200, v63
	s_waitcnt lgkmcnt(0)
	s_barrier
	ds_read2_b32 v[14:15], v2 offset0:112 offset1:192
	v_add_u32_e32 v2, 0x400, v63
	ds_read2_b32 v[12:13], v63 offset0:80 offset1:160
	ds_read2_b32 v[16:17], v2 offset0:144 offset1:224
	ds_read_b32 v8, v64
	ds_read_b32 v10, v63 offset:2240
                                        ; implicit-def: $vgpr2_vgpr3
	s_and_saveexec_b64 s[2:3], s[0:1]
	s_xor_b64 s[2:3], exec, s[2:3]
; %bb.20:
	v_mov_b32_e32 v2, v29
	v_mov_b32_e32 v3, v58
; %bb.21:
	s_andn2_saveexec_b64 s[2:3], s[2:3]
	s_cbranch_execz .LBB0_23
; %bb.22:
	v_add_u32_e32 v0, 0x400, v63
	v_add_u32_e32 v2, 0x600, v63
	ds_read2_b32 v[28:29], v2 offset0:80 offset1:160
	ds_read2_b32 v[2:3], v0 offset0:48 offset1:128
	;; [unrolled: 1-line block ×3, first 2 shown]
	ds_read_b32 v0, v62
	ds_read_b32 v26, v63 offset:2496
	s_waitcnt lgkmcnt(4)
	v_mov_b32_e32 v24, v29
	s_waitcnt lgkmcnt(3)
	v_mov_b32_e32 v25, v3
	;; [unrolled: 2-line block ×3, first 2 shown]
	v_mov_b32_e32 v27, v28
	v_mov_b32_e32 v28, v59
.LBB0_23:
	s_or_b64 exec, exec, s[2:3]
	v_add_f32_e32 v39, v66, v39
	v_add_f32_e32 v11, v39, v11
	v_fma_f32 v29, -0.5, v50, v36
	v_add_f32_e32 v7, v11, v7
	v_fmamk_f32 v41, v18, 0x3f737871, v29
	v_sub_f32_e32 v40, v44, v40
	v_fmac_f32_e32 v29, 0xbf737871, v18
	v_add_f32_e32 v7, v7, v9
	v_add_f32_e32 v9, v36, v46
	v_sub_f32_e32 v11, v52, v42
	v_sub_f32_e32 v39, v46, v4
	v_fmac_f32_e32 v41, 0x3f167918, v40
	v_fmac_f32_e32 v29, 0xbf167918, v40
	v_add_f32_e32 v9, v9, v4
	v_add_f32_e32 v11, v39, v11
	v_fmac_f32_e32 v36, -0.5, v56
	v_add_f32_e32 v9, v9, v42
	v_fmac_f32_e32 v41, 0x3e9e377a, v11
	v_fmac_f32_e32 v29, 0x3e9e377a, v11
	v_fmamk_f32 v11, v40, 0xbf737871, v36
	v_sub_f32_e32 v39, v42, v52
	v_sub_f32_e32 v4, v4, v46
	v_fmac_f32_e32 v36, 0x3f737871, v40
	v_mul_f32_e32 v5, 0x3f4f1bbd, v5
	s_mov_b32 s2, 0x3f737871
	s_mov_b32 s3, 0x3f167918
	v_add_f32_e32 v9, v9, v52
	v_fmac_f32_e32 v11, 0x3f167918, v18
	v_add_f32_e32 v4, v4, v39
	v_fmac_f32_e32 v36, 0xbf167918, v18
	v_fmac_f32_e32 v5, 0x3f167918, v38
	v_mul_f32_e32 v6, 0x3e9e377a, v6
	v_mul_f32_e32 v39, 0x3e9e377a, v49
	;; [unrolled: 1-line block ×3, first 2 shown]
	v_fmac_f32_e32 v11, 0x3e9e377a, v4
	v_fmac_f32_e32 v36, 0x3e9e377a, v4
	v_add_f32_e32 v4, v9, v7
	v_add_f32_e32 v18, v41, v5
	v_fmac_f32_e32 v6, 0x3f737871, v67
	v_fma_f32 v1, v1, s2, -v39
	v_fma_f32 v37, v55, s3, -v37
	v_add_f32_e32 v38, v11, v6
	v_add_f32_e32 v39, v36, v1
	;; [unrolled: 1-line block ×3, first 2 shown]
	v_sub_f32_e32 v7, v9, v7
	v_sub_f32_e32 v9, v41, v5
	;; [unrolled: 1-line block ×5, first 2 shown]
	s_waitcnt lgkmcnt(0)
	s_barrier
	ds_write2_b32 v19, v4, v18 offset1:8
	ds_write2_b32 v19, v38, v39 offset0:16 offset1:24
	ds_write2_b32 v19, v40, v7 offset0:32 offset1:40
	;; [unrolled: 1-line block ×4, first 2 shown]
	v_add_u32_e32 v4, 0x200, v63
	s_waitcnt lgkmcnt(0)
	s_barrier
	ds_read2_b32 v[36:37], v4 offset0:112 offset1:192
	v_add_u32_e32 v4, 0x400, v63
	ds_read2_b32 v[18:19], v63 offset0:80 offset1:160
	ds_read2_b32 v[40:41], v4 offset0:144 offset1:224
	ds_read_b32 v9, v64
	ds_read_b32 v38, v63 offset:2240
	s_and_saveexec_b64 s[2:3], s[0:1]
	s_xor_b64 s[0:1], exec, s[2:3]
	s_cbranch_execnz .LBB0_27
; %bb.24:
	s_andn2_saveexec_b64 s[0:1], s[0:1]
	s_cbranch_execnz .LBB0_28
.LBB0_25:
	s_or_b64 exec, exec, s[0:1]
	s_and_saveexec_b64 s[0:1], vcc
	s_cbranch_execnz .LBB0_29
.LBB0_26:
	s_endpgm
.LBB0_27:
	v_mov_b32_e32 v4, v35
                                        ; implicit-def: $vgpr62
                                        ; implicit-def: $vgpr63
	s_andn2_saveexec_b64 s[0:1], s[0:1]
	s_cbranch_execz .LBB0_25
.LBB0_28:
	v_add_u32_e32 v1, 0x400, v63
	v_add_u32_e32 v4, 0x600, v63
	ds_read2_b32 v[6:7], v4 offset0:80 offset1:160
	ds_read2_b32 v[4:5], v1 offset0:48 offset1:128
	;; [unrolled: 1-line block ×3, first 2 shown]
	ds_read_b32 v1, v62
	ds_read_b32 v32, v63 offset:2496
	s_waitcnt lgkmcnt(4)
	v_mov_b32_e32 v30, v7
	s_waitcnt lgkmcnt(3)
	v_mov_b32_e32 v31, v5
	s_waitcnt lgkmcnt(2)
	v_mov_b32_e32 v5, v34
	v_mov_b32_e32 v33, v6
	v_mov_b32_e32 v34, v35
	s_or_b64 exec, exec, s[0:1]
	s_and_saveexec_b64 s[0:1], vcc
	s_cbranch_execz .LBB0_26
.LBB0_29:
	v_mul_u32_u24_e32 v6, 7, v60
	v_lshlrev_b32_e32 v29, 3, v6
	global_load_dwordx4 v[42:45], v29, s[4:5] offset:608
	global_load_dwordx4 v[46:49], v29, s[4:5] offset:576
	;; [unrolled: 1-line block ×3, first 2 shown]
	v_mul_lo_u32 v11, s7, v22
	v_mul_lo_u32 v23, s6, v23
	v_mad_u64_u32 v[6:7], s[0:1], s6, v22, 0
	v_add3_u32 v7, v7, v23, v11
	global_load_dwordx2 v[22:23], v29, s[4:5] offset:624
	s_mov_b32 s0, 0xcccccccd
	v_mul_hi_u32 v11, v60, s0
	v_lshrrev_b32_e32 v11, 6, v11
	s_movk_i32 s1, 0x50
	v_mul_lo_u32 v11, v11, s1
	v_sub_u32_e32 v11, v60, v11
	v_mad_u64_u32 v[54:55], s[2:3], s16, v11, 0
	v_mov_b32_e32 v56, v55
	v_mad_u64_u32 v[56:57], s[2:3], s17, v11, v[56:57]
	v_lshl_add_u64 v[6:7], v[6:7], 3, s[10:11]
	v_mov_b32_e32 v55, v56
	v_lshl_add_u64 v[6:7], v[20:21], 3, v[6:7]
	v_add_u32_e32 v29, 0x50, v11
	v_lshl_add_u64 v[20:21], v[54:55], 3, v[6:7]
	v_mad_u64_u32 v[54:55], s[2:3], s16, v29, 0
	v_mov_b32_e32 v56, v55
	v_mad_u64_u32 v[56:57], s[2:3], s17, v29, v[56:57]
	v_add_u32_e32 v29, 0xa0, v11
	v_mov_b32_e32 v55, v56
	v_mad_u64_u32 v[56:57], s[2:3], s16, v29, 0
	v_mov_b32_e32 v58, v57
	v_mad_u64_u32 v[58:59], s[2:3], s17, v29, v[58:59]
	v_add_u32_e32 v29, 0xf0, v11
	v_mov_b32_e32 v57, v58
	;; [unrolled: 5-line block ×6, first 2 shown]
	v_mad_u64_u32 v[68:69], s[2:3], s16, v11, 0
	v_mov_b32_e32 v70, v69
	v_mad_u64_u32 v[70:71], s[2:3], s17, v11, v[70:71]
	v_mov_b32_e32 v74, v17
	v_mov_b32_e32 v75, v15
	;; [unrolled: 1-line block ×3, first 2 shown]
	s_waitcnt lgkmcnt(2)
	v_mov_b32_e32 v70, v41
	v_mov_b32_e32 v71, v37
	;; [unrolled: 1-line block ×5, first 2 shown]
	s_waitcnt vmcnt(3)
	v_mov_b32_e32 v72, v44
	v_mov_b32_e32 v41, v42
	s_waitcnt vmcnt(1)
	v_mov_b32_e32 v73, v52
	v_mov_b32_e32 v52, v45
	v_pk_mul_f32 v[44:45], v[74:75], v[52:53]
	v_mov_b32_e32 v12, v19
	v_pk_fma_f32 v[44:45], v[70:71], v[72:73], v[44:45] neg_lo:[0,0,1] neg_hi:[0,0,1]
	v_pk_mul_f32 v[72:73], v[74:75], v[72:73]
	s_waitcnt vmcnt(0)
	v_mov_b32_e32 v40, v22
	v_mov_b32_e32 v42, v23
	v_pk_fma_f32 v[52:53], v[70:71], v[52:53], v[72:73]
	v_mov_b32_e32 v37, v18
	v_mov_b32_e32 v70, v50
	;; [unrolled: 1-line block ×4, first 2 shown]
	v_pk_mul_f32 v[16:17], v[10:11], v[42:43]
	v_pk_mul_f32 v[10:11], v[10:11], v[40:41]
	v_pk_mul_f32 v[18:19], v[12:13], v[48:49] op_sel_hi:[0,1]
	v_mov_b32_e32 v12, v13
	v_pk_mul_f32 v[50:51], v[14:15], v[46:47]
	s_waitcnt lgkmcnt(0)
	v_pk_fma_f32 v[16:17], v[38:39], v[40:41], v[16:17] neg_lo:[0,0,1] neg_hi:[0,0,1]
	v_pk_mul_f32 v[14:15], v[14:15], v[70:71]
	v_pk_fma_f32 v[10:11], v[38:39], v[42:43], v[10:11]
	v_pk_fma_f32 v[38:39], v[12:13], v[48:49], v[18:19] op_sel:[0,0,1] op_sel_hi:[1,1,0]
	v_pk_fma_f32 v[12:13], v[12:13], v[48:49], v[18:19] op_sel:[0,0,1] op_sel_hi:[0,1,0] neg_lo:[1,0,0] neg_hi:[1,0,0]
	v_pk_fma_f32 v[50:51], v[36:37], v[70:71], v[50:51] neg_lo:[0,0,1] neg_hi:[0,0,1]
	v_pk_fma_f32 v[14:15], v[36:37], v[46:47], v[14:15]
	v_mov_b32_e32 v39, v13
	v_mov_b32_e32 v12, v13
	;; [unrolled: 1-line block ×5, first 2 shown]
	v_pk_add_f32 v[16:17], v[50:51], v[16:17] neg_lo:[0,1] neg_hi:[0,1]
	v_pk_add_f32 v[10:11], v[14:15], v[10:11] neg_lo:[0,1] neg_hi:[0,1]
	;; [unrolled: 1-line block ×4, first 2 shown]
	v_pk_add_f32 v[22:23], v[16:17], v[10:11] op_sel:[0,1] op_sel_hi:[1,0]
	v_pk_add_f32 v[36:37], v[16:17], v[10:11] op_sel:[0,1] op_sel_hi:[1,0] neg_lo:[0,1] neg_hi:[0,1]
	v_pk_add_f32 v[40:41], v[12:13], v[18:19] op_sel:[0,1] op_sel_hi:[1,0]
	v_pk_add_f32 v[42:43], v[12:13], v[18:19] op_sel:[0,1] op_sel_hi:[1,0] neg_lo:[0,1] neg_hi:[0,1]
	v_mov_b32_e32 v23, v37
	s_mov_b32 s0, 0x3f3504f3
	v_mov_b32_e32 v41, v43
	v_pk_mul_f32 v[36:37], v[22:23], s[0:1] op_sel_hi:[1,0]
	v_pk_fma_f32 v[42:43], v[22:23], s[0:1], v[40:41] op_sel_hi:[1,0,1]
	v_lshl_add_u64 v[54:55], v[54:55], 3, v[6:7]
	v_pk_add_f32 v[44:45], v[42:43], v[36:37] op_sel:[0,1] op_sel_hi:[1,0]
	v_pk_add_f32 v[36:37], v[42:43], v[36:37] op_sel:[0,1] op_sel_hi:[1,0] neg_lo:[0,1] neg_hi:[0,1]
	v_lshl_add_u64 v[56:57], v[56:57], 3, v[6:7]
	v_mov_b32_e32 v36, v19
	v_mov_b32_e32 v19, v12
	;; [unrolled: 1-line block ×4, first 2 shown]
	v_pk_fma_f32 v[12:13], v[38:39], 2.0, v[18:19] op_sel_hi:[1,0,1] neg_lo:[0,0,1] neg_hi:[0,0,1]
	v_mov_b32_e32 v18, v51
	v_mov_b32_e32 v51, v14
	;; [unrolled: 1-line block ×8, first 2 shown]
	v_pk_fma_f32 v[10:11], v[16:17], 2.0, v[22:23] op_sel_hi:[1,0,1] neg_lo:[0,0,1] neg_hi:[0,0,1]
	v_pk_fma_f32 v[22:23], v[36:37], 2.0, v[40:41] op_sel_hi:[1,0,1] neg_lo:[0,0,1] neg_hi:[0,0,1]
	;; [unrolled: 1-line block ×5, first 2 shown]
	v_pk_mul_f32 v[16:17], v[10:11], s[0:1] op_sel_hi:[1,0]
	v_pk_fma_f32 v[10:11], v[10:11], s[0:1], v[22:23] op_sel_hi:[1,0,1] neg_lo:[1,0,0] neg_hi:[1,0,0]
	v_pk_add_f32 v[12:13], v[8:9], v[12:13] neg_lo:[0,1] neg_hi:[0,1]
	v_pk_add_f32 v[14:15], v[18:19], v[14:15] neg_lo:[0,1] neg_hi:[0,1]
	v_pk_add_f32 v[36:37], v[10:11], v[16:17] op_sel:[0,1] op_sel_hi:[1,0]
	v_pk_add_f32 v[10:11], v[10:11], v[16:17] op_sel:[0,1] op_sel_hi:[1,0] neg_lo:[0,1] neg_hi:[0,1]
	v_pk_fma_f32 v[8:9], v[8:9], 2.0, v[12:13] op_sel_hi:[1,0,1] neg_lo:[0,0,1] neg_hi:[0,0,1]
	v_mov_b32_e32 v37, v11
	v_pk_fma_f32 v[10:11], v[18:19], 2.0, v[14:15] op_sel_hi:[1,0,1] neg_lo:[0,0,1] neg_hi:[0,0,1]
	v_pk_add_f32 v[38:39], v[12:13], v[14:15]
	v_pk_add_f32 v[10:11], v[8:9], v[10:11] op_sel:[0,1] op_sel_hi:[1,0] neg_lo:[0,1] neg_hi:[0,1]
	v_pk_add_f32 v[42:43], v[12:13], v[14:15] neg_lo:[0,1] neg_hi:[0,1]
	v_pk_fma_f32 v[8:9], v[8:9], 2.0, v[10:11] op_sel_hi:[1,0,1] neg_lo:[0,0,1] neg_hi:[0,0,1]
	v_mov_b32_e32 v39, v43
	global_store_dwordx2 v[20:21], v[8:9], off
	v_pk_fma_f32 v[8:9], v[22:23], 2.0, v[36:37] op_sel_hi:[1,0,1] neg_lo:[0,0,1] neg_hi:[0,0,1]
	global_store_dwordx2 v[54:55], v[8:9], off
	v_pk_fma_f32 v[8:9], v[12:13], 2.0, v[38:39] op_sel_hi:[1,0,1] neg_lo:[0,0,1] neg_hi:[0,0,1]
	v_lshl_add_u64 v[58:59], v[58:59], 3, v[6:7]
	global_store_dwordx2 v[56:57], v[8:9], off
	v_pk_fma_f32 v[8:9], v[40:41], 2.0, v[44:45] op_sel_hi:[1,0,1] neg_lo:[0,0,1] neg_hi:[0,0,1]
	v_lshl_add_u64 v[62:63], v[62:63], 3, v[6:7]
	v_lshl_add_u64 v[64:65], v[64:65], 3, v[6:7]
	;; [unrolled: 1-line block ×4, first 2 shown]
	global_store_dwordx2 v[58:59], v[8:9], off
	global_store_dwordx2 v[62:63], v[10:11], off
	;; [unrolled: 1-line block ×5, first 2 shown]
	v_add_u32_e32 v8, 64, v60
	v_cmp_gt_u32_e32 vcc, s1, v8
	s_and_b64 exec, exec, vcc
	s_cbranch_execz .LBB0_26
; %bb.30:
	v_add_u32_e32 v9, -16, v60
	v_cmp_gt_u32_e32 vcc, s1, v61
	v_mov_b32_e32 v11, 0
	v_mad_u64_u32 v[38:39], s[2:3], s16, v8, 0
	v_cndmask_b32_e32 v9, v9, v61, vcc
	v_mul_i32_i24_e32 v10, 7, v9
	v_lshl_add_u64 v[22:23], v[10:11], 3, s[4:5]
	global_load_dwordx4 v[10:13], v[22:23], off offset:592
	global_load_dwordx4 v[14:17], v[22:23], off offset:576
	;; [unrolled: 1-line block ×3, first 2 shown]
	global_load_dwordx2 v[36:37], v[22:23], off offset:624
	v_mov_b32_e32 v23, v1
	v_mov_b32_e32 v22, v39
	v_mad_u64_u32 v[40:41], s[2:3], s17, v8, v[22:23]
	v_mov_b32_e32 v39, v40
	v_mov_b32_e32 v9, v0
	s_waitcnt vmcnt(3)
	v_mov_b32_e32 v40, v10
	s_waitcnt vmcnt(2)
	v_mov_b32_e32 v41, v14
	v_mov_b32_e32 v14, v11
	;; [unrolled: 1-line block ×3, first 2 shown]
	s_waitcnt vmcnt(1)
	v_mov_b32_e32 v12, v21
	v_mov_b32_e32 v21, v18
	s_waitcnt vmcnt(0)
	v_mov_b32_e32 v18, v37
	v_pk_mul_f32 v[34:35], v[34:35], v[16:17] op_sel_hi:[0,1]
	v_mov_b32_e32 v10, v20
	v_mov_b32_e32 v20, v36
	v_pk_mul_f32 v[36:37], v[4:5], v[14:15]
	v_pk_mul_f32 v[14:15], v[2:3], v[14:15]
	;; [unrolled: 1-line block ×6, first 2 shown]
	v_pk_fma_f32 v[46:47], v[28:29], v[16:17], v[34:35] op_sel:[0,0,1] op_sel_hi:[1,1,0]
	v_pk_fma_f32 v[16:17], v[28:29], v[16:17], v[34:35] op_sel:[0,0,1] op_sel_hi:[0,1,0] neg_lo:[1,0,0] neg_hi:[1,0,0]
	v_pk_fma_f32 v[2:3], v[2:3], v[40:41], v[36:37]
	v_pk_fma_f32 v[4:5], v[4:5], v[40:41], v[14:15] neg_lo:[0,0,1] neg_hi:[0,0,1]
	v_pk_fma_f32 v[14:15], v[24:25], v[10:11], v[42:43]
	v_pk_fma_f32 v[10:11], v[30:31], v[10:11], v[12:13] neg_lo:[0,0,1] neg_hi:[0,0,1]
	;; [unrolled: 2-line block ×3, first 2 shown]
	v_mov_b32_e32 v8, v46
	v_mov_b32_e32 v22, v17
	;; [unrolled: 1-line block ×3, first 2 shown]
	v_pk_add_f32 v[12:13], v[2:3], v[12:13] neg_lo:[0,1] neg_hi:[0,1]
	v_pk_add_f32 v[16:17], v[4:5], v[18:19] neg_lo:[0,1] neg_hi:[0,1]
	;; [unrolled: 1-line block ×4, first 2 shown]
	v_mov_b32_e32 v14, v5
	v_mov_b32_e32 v15, v3
	;; [unrolled: 1-line block ×3, first 2 shown]
	v_pk_add_f32 v[2:3], v[16:17], v[12:13] op_sel:[0,1] op_sel_hi:[1,0]
	v_pk_add_f32 v[18:19], v[16:17], v[12:13] op_sel:[0,1] op_sel_hi:[1,0] neg_lo:[0,1] neg_hi:[0,1]
	v_mov_b32_e32 v20, v9
	v_mov_b32_e32 v21, v11
	;; [unrolled: 1-line block ×8, first 2 shown]
	v_pk_add_f32 v[28:29], v[10:11], v[8:9] op_sel:[0,1] op_sel_hi:[1,0]
	v_pk_add_f32 v[8:9], v[10:11], v[8:9] op_sel:[0,1] op_sel_hi:[1,0] neg_lo:[0,1] neg_hi:[0,1]
	v_mov_b32_e32 v16, v13
	v_mov_b32_e32 v3, v19
	v_pk_fma_f32 v[0:1], v[0:1], 2.0, v[20:21] op_sel_hi:[1,0,1] neg_lo:[0,0,1] neg_hi:[0,0,1]
	v_pk_fma_f32 v[10:11], v[46:47], 2.0, v[22:23] op_sel_hi:[1,0,1] neg_lo:[0,0,1] neg_hi:[0,0,1]
	;; [unrolled: 1-line block ×4, first 2 shown]
	v_mov_b32_e32 v29, v9
	v_pk_add_f32 v[8:9], v[0:1], v[10:11] neg_lo:[0,1] neg_hi:[0,1]
	v_pk_add_f32 v[4:5], v[12:13], v[4:5] neg_lo:[0,1] neg_hi:[0,1]
	v_pk_fma_f32 v[10:11], v[16:17], 2.0, v[2:3] op_sel_hi:[1,0,1] neg_lo:[0,0,1] neg_hi:[0,0,1]
	v_pk_fma_f32 v[14:15], v[20:21], 2.0, v[28:29] op_sel_hi:[1,0,1] neg_lo:[0,0,1] neg_hi:[0,0,1]
	v_pk_mul_f32 v[16:17], v[2:3], s[0:1] op_sel_hi:[1,0]
	v_pk_fma_f32 v[2:3], v[2:3], s[0:1], v[28:29] op_sel_hi:[1,0,1]
	v_pk_fma_f32 v[0:1], v[0:1], 2.0, v[8:9] op_sel_hi:[1,0,1] neg_lo:[0,0,1] neg_hi:[0,0,1]
	v_pk_fma_f32 v[12:13], v[12:13], 2.0, v[4:5] op_sel_hi:[1,0,1] neg_lo:[0,0,1] neg_hi:[0,0,1]
	v_pk_mul_f32 v[18:19], v[10:11], s[0:1] op_sel_hi:[1,0]
	v_pk_fma_f32 v[10:11], v[10:11], s[0:1], v[14:15] op_sel_hi:[1,0,1] neg_lo:[1,0,0] neg_hi:[1,0,0]
	v_pk_add_f32 v[22:23], v[2:3], v[16:17] op_sel:[0,1] op_sel_hi:[1,0]
	v_pk_add_f32 v[2:3], v[2:3], v[16:17] op_sel:[0,1] op_sel_hi:[1,0] neg_lo:[0,1] neg_hi:[0,1]
	v_pk_add_f32 v[12:13], v[0:1], v[12:13] op_sel:[0,1] op_sel_hi:[1,0] neg_lo:[0,1] neg_hi:[0,1]
	v_pk_add_f32 v[16:17], v[10:11], v[18:19] op_sel:[0,1] op_sel_hi:[1,0]
	v_pk_add_f32 v[10:11], v[10:11], v[18:19] op_sel:[0,1] op_sel_hi:[1,0] neg_lo:[0,1] neg_hi:[0,1]
	v_pk_fma_f32 v[0:1], v[0:1], 2.0, v[12:13] op_sel_hi:[1,0,1] neg_lo:[0,0,1] neg_hi:[0,0,1]
	v_mov_b32_e32 v17, v11
	v_lshl_add_u64 v[10:11], v[38:39], 3, v[6:7]
	global_store_dwordx2 v[10:11], v[0:1], off
	v_add_u32_e32 v11, 0x90, v60
	v_mad_u64_u32 v[0:1], s[0:1], s16, v11, 0
	v_mov_b32_e32 v10, v1
	v_pk_add_f32 v[20:21], v[8:9], v[4:5]
	v_pk_add_f32 v[4:5], v[8:9], v[4:5] neg_lo:[0,1] neg_hi:[0,1]
	v_mad_u64_u32 v[10:11], s[0:1], s17, v11, v[10:11]
	v_mov_b32_e32 v21, v5
	v_mov_b32_e32 v1, v10
	v_mov_b32_e32 v23, v3
	v_pk_fma_f32 v[2:3], v[8:9], 2.0, v[20:21] op_sel_hi:[1,0,1] neg_lo:[0,0,1] neg_hi:[0,0,1]
	v_pk_fma_f32 v[8:9], v[14:15], 2.0, v[16:17] op_sel_hi:[1,0,1] neg_lo:[0,0,1] neg_hi:[0,0,1]
	v_lshl_add_u64 v[0:1], v[0:1], 3, v[6:7]
	global_store_dwordx2 v[0:1], v[8:9], off
	v_add_u32_e32 v9, 0xe0, v60
	v_mad_u64_u32 v[0:1], s[0:1], s16, v9, 0
	v_mov_b32_e32 v8, v1
	v_mad_u64_u32 v[8:9], s[0:1], s17, v9, v[8:9]
	v_mov_b32_e32 v1, v8
	v_lshl_add_u64 v[0:1], v[0:1], 3, v[6:7]
	global_store_dwordx2 v[0:1], v[2:3], off
	v_add_u32_e32 v3, 0x130, v60
	v_mad_u64_u32 v[0:1], s[0:1], s16, v3, 0
	v_mov_b32_e32 v2, v1
	v_mad_u64_u32 v[2:3], s[0:1], s17, v3, v[2:3]
	v_mov_b32_e32 v1, v2
	v_pk_fma_f32 v[4:5], v[28:29], 2.0, v[22:23] op_sel_hi:[1,0,1] neg_lo:[0,0,1] neg_hi:[0,0,1]
	v_lshl_add_u64 v[0:1], v[0:1], 3, v[6:7]
	v_add_u32_e32 v3, 0x180, v60
	global_store_dwordx2 v[0:1], v[4:5], off
	v_mad_u64_u32 v[0:1], s[0:1], s16, v3, 0
	v_mov_b32_e32 v2, v1
	v_mad_u64_u32 v[2:3], s[0:1], s17, v3, v[2:3]
	v_mov_b32_e32 v1, v2
	v_lshl_add_u64 v[0:1], v[0:1], 3, v[6:7]
	v_add_u32_e32 v3, 0x1d0, v60
	global_store_dwordx2 v[0:1], v[12:13], off
	v_mad_u64_u32 v[0:1], s[0:1], s16, v3, 0
	v_mov_b32_e32 v2, v1
	v_mad_u64_u32 v[2:3], s[0:1], s17, v3, v[2:3]
	v_mov_b32_e32 v1, v2
	;; [unrolled: 7-line block ×4, first 2 shown]
	v_lshl_add_u64 v[0:1], v[0:1], 3, v[6:7]
	global_store_dwordx2 v[0:1], v[22:23], off
	s_endpgm
	.section	.rodata,"a",@progbits
	.p2align	6, 0x0
	.amdhsa_kernel fft_rtc_back_len640_factors_8_10_8_wgs_128_tpt_64_halfLds_sp_op_CI_CI_sbrr_dirReg
		.amdhsa_group_segment_fixed_size 0
		.amdhsa_private_segment_fixed_size 0
		.amdhsa_kernarg_size 104
		.amdhsa_user_sgpr_count 2
		.amdhsa_user_sgpr_dispatch_ptr 0
		.amdhsa_user_sgpr_queue_ptr 0
		.amdhsa_user_sgpr_kernarg_segment_ptr 1
		.amdhsa_user_sgpr_dispatch_id 0
		.amdhsa_user_sgpr_kernarg_preload_length 0
		.amdhsa_user_sgpr_kernarg_preload_offset 0
		.amdhsa_user_sgpr_private_segment_size 0
		.amdhsa_uses_dynamic_stack 0
		.amdhsa_enable_private_segment 0
		.amdhsa_system_sgpr_workgroup_id_x 1
		.amdhsa_system_sgpr_workgroup_id_y 0
		.amdhsa_system_sgpr_workgroup_id_z 0
		.amdhsa_system_sgpr_workgroup_info 0
		.amdhsa_system_vgpr_workitem_id 0
		.amdhsa_next_free_vgpr 83
		.amdhsa_next_free_sgpr 32
		.amdhsa_accum_offset 84
		.amdhsa_reserve_vcc 1
		.amdhsa_float_round_mode_32 0
		.amdhsa_float_round_mode_16_64 0
		.amdhsa_float_denorm_mode_32 3
		.amdhsa_float_denorm_mode_16_64 3
		.amdhsa_dx10_clamp 1
		.amdhsa_ieee_mode 1
		.amdhsa_fp16_overflow 0
		.amdhsa_tg_split 0
		.amdhsa_exception_fp_ieee_invalid_op 0
		.amdhsa_exception_fp_denorm_src 0
		.amdhsa_exception_fp_ieee_div_zero 0
		.amdhsa_exception_fp_ieee_overflow 0
		.amdhsa_exception_fp_ieee_underflow 0
		.amdhsa_exception_fp_ieee_inexact 0
		.amdhsa_exception_int_div_zero 0
	.end_amdhsa_kernel
	.text
.Lfunc_end0:
	.size	fft_rtc_back_len640_factors_8_10_8_wgs_128_tpt_64_halfLds_sp_op_CI_CI_sbrr_dirReg, .Lfunc_end0-fft_rtc_back_len640_factors_8_10_8_wgs_128_tpt_64_halfLds_sp_op_CI_CI_sbrr_dirReg
                                        ; -- End function
	.section	.AMDGPU.csdata,"",@progbits
; Kernel info:
; codeLenInByte = 7360
; NumSgprs: 38
; NumVgprs: 83
; NumAgprs: 0
; TotalNumVgprs: 83
; ScratchSize: 0
; MemoryBound: 0
; FloatMode: 240
; IeeeMode: 1
; LDSByteSize: 0 bytes/workgroup (compile time only)
; SGPRBlocks: 4
; VGPRBlocks: 10
; NumSGPRsForWavesPerEU: 38
; NumVGPRsForWavesPerEU: 83
; AccumOffset: 84
; Occupancy: 5
; WaveLimiterHint : 1
; COMPUTE_PGM_RSRC2:SCRATCH_EN: 0
; COMPUTE_PGM_RSRC2:USER_SGPR: 2
; COMPUTE_PGM_RSRC2:TRAP_HANDLER: 0
; COMPUTE_PGM_RSRC2:TGID_X_EN: 1
; COMPUTE_PGM_RSRC2:TGID_Y_EN: 0
; COMPUTE_PGM_RSRC2:TGID_Z_EN: 0
; COMPUTE_PGM_RSRC2:TIDIG_COMP_CNT: 0
; COMPUTE_PGM_RSRC3_GFX90A:ACCUM_OFFSET: 20
; COMPUTE_PGM_RSRC3_GFX90A:TG_SPLIT: 0
	.text
	.p2alignl 6, 3212836864
	.fill 256, 4, 3212836864
	.type	__hip_cuid_63dda74dbd6fc909,@object ; @__hip_cuid_63dda74dbd6fc909
	.section	.bss,"aw",@nobits
	.globl	__hip_cuid_63dda74dbd6fc909
__hip_cuid_63dda74dbd6fc909:
	.byte	0                               ; 0x0
	.size	__hip_cuid_63dda74dbd6fc909, 1

	.ident	"AMD clang version 19.0.0git (https://github.com/RadeonOpenCompute/llvm-project roc-6.4.0 25133 c7fe45cf4b819c5991fe208aaa96edf142730f1d)"
	.section	".note.GNU-stack","",@progbits
	.addrsig
	.addrsig_sym __hip_cuid_63dda74dbd6fc909
	.amdgpu_metadata
---
amdhsa.kernels:
  - .agpr_count:     0
    .args:
      - .actual_access:  read_only
        .address_space:  global
        .offset:         0
        .size:           8
        .value_kind:     global_buffer
      - .offset:         8
        .size:           8
        .value_kind:     by_value
      - .actual_access:  read_only
        .address_space:  global
        .offset:         16
        .size:           8
        .value_kind:     global_buffer
      - .actual_access:  read_only
        .address_space:  global
        .offset:         24
        .size:           8
        .value_kind:     global_buffer
      - .actual_access:  read_only
        .address_space:  global
        .offset:         32
        .size:           8
        .value_kind:     global_buffer
      - .offset:         40
        .size:           8
        .value_kind:     by_value
      - .actual_access:  read_only
        .address_space:  global
        .offset:         48
        .size:           8
        .value_kind:     global_buffer
      - .actual_access:  read_only
        .address_space:  global
        .offset:         56
        .size:           8
        .value_kind:     global_buffer
      - .offset:         64
        .size:           4
        .value_kind:     by_value
      - .actual_access:  read_only
        .address_space:  global
        .offset:         72
        .size:           8
        .value_kind:     global_buffer
      - .actual_access:  read_only
        .address_space:  global
        .offset:         80
        .size:           8
        .value_kind:     global_buffer
      - .actual_access:  read_only
        .address_space:  global
        .offset:         88
        .size:           8
        .value_kind:     global_buffer
      - .actual_access:  write_only
        .address_space:  global
        .offset:         96
        .size:           8
        .value_kind:     global_buffer
    .group_segment_fixed_size: 0
    .kernarg_segment_align: 8
    .kernarg_segment_size: 104
    .language:       OpenCL C
    .language_version:
      - 2
      - 0
    .max_flat_workgroup_size: 128
    .name:           fft_rtc_back_len640_factors_8_10_8_wgs_128_tpt_64_halfLds_sp_op_CI_CI_sbrr_dirReg
    .private_segment_fixed_size: 0
    .sgpr_count:     38
    .sgpr_spill_count: 0
    .symbol:         fft_rtc_back_len640_factors_8_10_8_wgs_128_tpt_64_halfLds_sp_op_CI_CI_sbrr_dirReg.kd
    .uniform_work_group_size: 1
    .uses_dynamic_stack: false
    .vgpr_count:     83
    .vgpr_spill_count: 0
    .wavefront_size: 64
amdhsa.target:   amdgcn-amd-amdhsa--gfx950
amdhsa.version:
  - 1
  - 2
...

	.end_amdgpu_metadata
